;; amdgpu-corpus repo=ROCm/rocFFT kind=compiled arch=gfx906 opt=O3
	.text
	.amdgcn_target "amdgcn-amd-amdhsa--gfx906"
	.amdhsa_code_object_version 6
	.protected	bluestein_single_back_len1792_dim1_sp_op_CI_CI ; -- Begin function bluestein_single_back_len1792_dim1_sp_op_CI_CI
	.globl	bluestein_single_back_len1792_dim1_sp_op_CI_CI
	.p2align	8
	.type	bluestein_single_back_len1792_dim1_sp_op_CI_CI,@function
bluestein_single_back_len1792_dim1_sp_op_CI_CI: ; @bluestein_single_back_len1792_dim1_sp_op_CI_CI
; %bb.0:
	s_load_dwordx4 s[16:19], s[4:5], 0x28
	v_mul_u32_u24_e32 v1, 0x125, v0
	v_add_u32_sdwa v68, s6, v1 dst_sel:DWORD dst_unused:UNUSED_PAD src0_sel:DWORD src1_sel:WORD_1
	v_mov_b32_e32 v69, 0
	s_waitcnt lgkmcnt(0)
	v_cmp_gt_u64_e32 vcc, s[16:17], v[68:69]
	s_and_saveexec_b64 s[0:1], vcc
	s_cbranch_execz .LBB0_10
; %bb.1:
	s_load_dwordx4 s[0:3], s[4:5], 0x18
	s_load_dwordx4 s[12:15], s[4:5], 0x0
	s_movk_i32 s6, 0xe0
	v_mul_lo_u16_sdwa v1, v1, s6 dst_sel:DWORD dst_unused:UNUSED_PAD src0_sel:WORD_1 src1_sel:DWORD
	v_sub_u16_e32 v94, v0, v1
	s_waitcnt lgkmcnt(0)
	s_load_dwordx4 s[8:11], s[0:1], 0x0
	v_lshlrev_b32_e32 v93, 3, v94
	global_load_dwordx2 v[77:78], v93, s[12:13]
	v_mov_b32_e32 v14, 0xffffdd00
	v_add_u32_e32 v28, 0x1c00, v93
	s_waitcnt lgkmcnt(0)
	v_mad_u64_u32 v[0:1], s[0:1], s10, v68, 0
	v_mad_u64_u32 v[2:3], s[0:1], s8, v94, 0
	s_mul_i32 s10, s8, 0xe00
	v_add_u32_e32 v29, 0xe00, v93
	v_mad_u64_u32 v[4:5], s[0:1], s11, v68, v[1:2]
	v_add_u32_e32 v30, 0x2a00, v93
	v_lshlrev_b32_e32 v95, 5, v94
	v_mad_u64_u32 v[5:6], s[0:1], s9, v94, v[3:4]
	v_mov_b32_e32 v1, v4
	v_lshlrev_b64 v[0:1], 3, v[0:1]
	v_mov_b32_e32 v6, s19
	v_mov_b32_e32 v3, v5
	v_add_co_u32_e32 v4, vcc, s18, v0
	v_addc_co_u32_e32 v5, vcc, v6, v1, vcc
	v_lshlrev_b64 v[0:1], 3, v[2:3]
	v_mov_b32_e32 v2, s13
	v_add_co_u32_e32 v0, vcc, v4, v0
	v_addc_co_u32_e32 v1, vcc, v5, v1, vcc
	v_add_co_u32_e32 v18, vcc, s12, v93
	s_mul_i32 s0, s9, 0xe00
	s_mul_hi_u32 s1, s8, 0xe00
	v_addc_co_u32_e32 v19, vcc, 0, v2, vcc
	s_add_i32 s7, s1, s0
	v_mov_b32_e32 v3, s7
	v_add_co_u32_e32 v2, vcc, s10, v0
	v_addc_co_u32_e32 v3, vcc, v1, v3, vcc
	v_mov_b32_e32 v5, s7
	v_add_co_u32_e32 v4, vcc, s10, v2
	v_addc_co_u32_e32 v5, vcc, v3, v5, vcc
	s_movk_i32 s0, 0x1000
	global_load_dwordx2 v[6:7], v[0:1], off
	global_load_dwordx2 v[8:9], v[2:3], off
	;; [unrolled: 1-line block ×3, first 2 shown]
	v_add_co_u32_e32 v0, vcc, s0, v18
	v_addc_co_u32_e32 v1, vcc, 0, v19, vcc
	v_mov_b32_e32 v3, s7
	v_add_co_u32_e32 v2, vcc, s10, v4
	v_addc_co_u32_e32 v3, vcc, v5, v3, vcc
	s_movk_i32 s0, 0x2000
	global_load_dwordx2 v[4:5], v[2:3], off
	v_add_co_u32_e32 v12, vcc, s0, v18
	v_mad_u64_u32 v[2:3], s[0:1], s8, v14, v[2:3]
	global_load_dwordx2 v[73:74], v[0:1], off offset:3072
	v_addc_co_u32_e32 v13, vcc, 0, v19, vcc
	global_load_dwordx2 v[79:80], v93, s[12:13] offset:3584
	global_load_dwordx2 v[75:76], v[12:13], off offset:2560
	s_mul_i32 s0, s9, 0xffffdd00
	s_sub_i32 s0, s0, s8
	v_add_u32_e32 v3, s0, v3
	global_load_dwordx2 v[14:15], v[2:3], off
	global_load_dwordx2 v[71:72], v93, s[12:13] offset:1792
	v_mov_b32_e32 v16, s7
	v_add_co_u32_e32 v2, vcc, s10, v2
	v_addc_co_u32_e32 v3, vcc, v3, v16, vcc
	global_load_dwordx2 v[16:17], v[2:3], off
	global_load_dwordx2 v[69:70], v[0:1], off offset:1280
	v_mov_b32_e32 v1, s7
	v_add_co_u32_e32 v0, vcc, s10, v2
	v_addc_co_u32_e32 v1, vcc, v3, v1, vcc
	global_load_dwordx2 v[2:3], v[0:1], off
	global_load_dwordx2 v[66:67], v[12:13], off offset:768
	v_mov_b32_e32 v12, s7
	v_add_co_u32_e32 v0, vcc, s10, v0
	v_addc_co_u32_e32 v1, vcc, v1, v12, vcc
	s_movk_i32 s0, 0x3000
	v_add_co_u32_e32 v12, vcc, s0, v18
	v_addc_co_u32_e32 v13, vcc, 0, v19, vcc
	global_load_dwordx2 v[0:1], v[0:1], off
	s_load_dwordx4 s[8:11], s[2:3], 0x0
	global_load_dwordx2 v[64:65], v[12:13], off offset:256
	v_lshlrev_b32_e32 v31, 2, v94
	s_load_dwordx2 s[2:3], s[4:5], 0x38
                                        ; implicit-def: $vgpr89
                                        ; implicit-def: $vgpr50
                                        ; implicit-def: $vgpr54
	s_waitcnt vmcnt(14)
	v_mul_f32_e32 v12, v7, v78
	v_fmac_f32_e32 v12, v6, v77
	v_mul_f32_e32 v6, v6, v78
	v_fma_f32 v13, v7, v77, -v6
	s_waitcnt vmcnt(9)
	v_mul_f32_e32 v6, v9, v80
	v_mul_f32_e32 v7, v8, v80
	v_fmac_f32_e32 v6, v8, v79
	v_fma_f32 v7, v9, v79, -v7
	ds_write_b64 v93, v[6:7] offset:3584
	v_mul_f32_e32 v6, v11, v74
	v_mul_f32_e32 v7, v10, v74
	v_fmac_f32_e32 v6, v10, v73
	v_fma_f32 v7, v11, v73, -v7
	ds_write_b64 v93, v[6:7] offset:7168
	s_waitcnt vmcnt(8)
	v_mul_f32_e32 v6, v5, v76
	v_fmac_f32_e32 v6, v4, v75
	v_mul_f32_e32 v4, v4, v76
	v_fma_f32 v7, v5, v75, -v4
	ds_write_b64 v93, v[6:7] offset:10752
	s_waitcnt vmcnt(6)
	v_mul_f32_e32 v5, v15, v72
	v_mul_f32_e32 v6, v14, v72
	v_fmac_f32_e32 v5, v14, v71
	v_fma_f32 v6, v15, v71, -v6
	ds_write2_b64 v93, v[12:13], v[5:6] offset1:224
	s_waitcnt vmcnt(4)
	v_mul_f32_e32 v5, v17, v70
	v_mul_f32_e32 v6, v16, v70
	v_fmac_f32_e32 v5, v16, v69
	v_fma_f32 v6, v17, v69, -v6
	ds_write_b64 v93, v[5:6] offset:5376
	s_waitcnt vmcnt(2)
	v_mul_f32_e32 v5, v3, v67
	v_fmac_f32_e32 v5, v2, v66
	v_mul_f32_e32 v2, v2, v67
	v_fma_f32 v6, v3, v66, -v2
	ds_write_b64 v93, v[5:6] offset:8960
	s_waitcnt vmcnt(0)
	v_mul_f32_e32 v2, v1, v65
	v_fmac_f32_e32 v2, v0, v64
	v_mul_f32_e32 v0, v0, v65
	v_fma_f32 v3, v1, v64, -v0
	ds_write_b64 v93, v[2:3] offset:12544
	s_waitcnt lgkmcnt(0)
	s_barrier
	ds_read2_b64 v[0:3], v93 offset1:224
	ds_read2_b64 v[5:8], v28 offset1:224
	;; [unrolled: 1-line block ×4, first 2 shown]
	v_add_co_u32_e32 v4, vcc, s6, v94
	s_waitcnt lgkmcnt(2)
	v_sub_f32_e32 v5, v0, v5
	v_sub_f32_e32 v6, v1, v6
	s_waitcnt lgkmcnt(0)
	v_sub_f32_e32 v13, v9, v13
	v_sub_f32_e32 v14, v10, v14
	v_fma_f32 v0, v0, 2.0, -v5
	v_fma_f32 v1, v1, 2.0, -v6
	;; [unrolled: 1-line block ×4, first 2 shown]
	v_sub_f32_e32 v17, v0, v9
	v_sub_f32_e32 v18, v1, v10
	;; [unrolled: 1-line block ×6, first 2 shown]
	v_fma_f32 v21, v0, 2.0, -v17
	v_fma_f32 v22, v1, 2.0, -v18
	;; [unrolled: 1-line block ×6, first 2 shown]
	v_sub_f32_e32 v19, v5, v14
	v_add_f32_e32 v20, v6, v13
	v_sub_f32_e32 v0, v2, v0
	v_sub_f32_e32 v1, v3, v1
	v_fma_f32 v23, v5, 2.0, -v19
	v_fma_f32 v24, v6, 2.0, -v20
	;; [unrolled: 1-line block ×4, first 2 shown]
	v_sub_f32_e32 v2, v7, v10
	v_add_f32_e32 v3, v8, v9
	v_fma_f32 v7, v7, 2.0, -v2
	v_fma_f32 v8, v8, 2.0, -v3
	s_barrier
	ds_write_b128 v95, v[21:24]
	ds_write_b128 v95, v[17:20] offset:16
	v_lshlrev_b32_e32 v96, 5, v4
	v_and_b32_e32 v21, 3, v94
	ds_write_b128 v96, v[5:8]
	ds_write_b128 v96, v[0:3] offset:16
	v_mad_u64_u32 v[5:6], s[0:1], v21, 24, s[14:15]
	s_waitcnt lgkmcnt(0)
	s_barrier
	global_load_dwordx4 v[0:3], v[5:6], off
	global_load_dwordx2 v[81:82], v[5:6], off offset:16
	ds_read2_b64 v[5:8], v29 offset1:224
	ds_read2_b64 v[9:12], v93 offset1:224
	;; [unrolled: 1-line block ×4, first 2 shown]
	s_movk_i32 s0, 0x3f0
	v_lshlrev_b32_e32 v32, 2, v4
	s_waitcnt vmcnt(0) lgkmcnt(0)
	s_barrier
	v_mul_f32_e32 v22, v6, v1
	v_fma_f32 v22, v5, v0, -v22
	v_mul_f32_e32 v5, v5, v1
	v_fmac_f32_e32 v5, v6, v0
	v_mul_f32_e32 v6, v14, v3
	v_fma_f32 v6, v13, v2, -v6
	v_mul_f32_e32 v13, v13, v3
	v_fmac_f32_e32 v13, v14, v2
	;; [unrolled: 4-line block ×3, first 2 shown]
	v_mul_f32_e32 v18, v8, v1
	v_fma_f32 v18, v7, v0, -v18
	v_mul_f32_e32 v23, v7, v1
	v_mul_f32_e32 v7, v16, v3
	v_fma_f32 v24, v15, v2, -v7
	v_mul_f32_e32 v15, v15, v3
	v_mul_f32_e32 v7, v20, v82
	v_fmac_f32_e32 v15, v16, v2
	v_fma_f32 v16, v19, v81, -v7
	v_mul_f32_e32 v19, v19, v82
	v_sub_f32_e32 v25, v10, v13
	v_fmac_f32_e32 v23, v8, v0
	v_fmac_f32_e32 v19, v20, v81
	v_sub_f32_e32 v20, v9, v6
	v_fma_f32 v8, v10, 2.0, -v25
	v_sub_f32_e32 v10, v22, v14
	v_fma_f32 v7, v9, 2.0, -v20
	;; [unrolled: 2-line block ×3, first 2 shown]
	v_sub_f32_e32 v22, v12, v15
	v_sub_f32_e32 v19, v23, v19
	v_fma_f32 v13, v5, 2.0, -v9
	v_sub_f32_e32 v9, v20, v9
	v_fma_f32 v17, v12, 2.0, -v22
	v_fma_f32 v12, v23, 2.0, -v19
	v_sub_f32_e32 v5, v7, v6
	v_sub_f32_e32 v6, v8, v13
	v_fma_f32 v13, v20, 2.0, -v9
	v_sub_f32_e32 v20, v11, v24
	v_sub_f32_e32 v24, v18, v16
	;; [unrolled: 1-line block ×3, first 2 shown]
	v_fma_f32 v15, v11, 2.0, -v20
	v_fma_f32 v11, v18, 2.0, -v24
	;; [unrolled: 1-line block ×3, first 2 shown]
	v_sub_f32_e32 v17, v20, v19
	v_add_f32_e32 v18, v22, v24
	v_add_f32_e32 v10, v25, v10
	v_fma_f32 v19, v20, 2.0, -v17
	v_fma_f32 v20, v22, 2.0, -v18
	v_and_or_b32 v22, v31, s0, v21
	v_fma_f32 v7, v7, 2.0, -v5
	v_fma_f32 v8, v8, 2.0, -v6
	v_fma_f32 v14, v25, 2.0, -v10
	v_lshlrev_b32_e32 v97, 3, v22
	s_movk_i32 s0, 0x7f0
	ds_write2_b64 v97, v[7:8], v[13:14] offset1:4
	ds_write2_b64 v97, v[5:6], v[9:10] offset0:8 offset1:12
	v_and_or_b32 v5, v32, s0, v21
	v_and_b32_e32 v7, 15, v94
	v_lshlrev_b32_e32 v98, 3, v5
	v_mad_u64_u32 v[5:6], s[0:1], v7, 24, s[14:15]
	v_sub_f32_e32 v11, v15, v11
	v_fma_f32 v15, v15, 2.0, -v11
	ds_write2_b64 v98, v[15:16], v[19:20] offset1:4
	ds_write2_b64 v98, v[11:12], v[17:18] offset0:8 offset1:12
	s_waitcnt lgkmcnt(0)
	s_barrier
	global_load_dwordx4 v[8:11], v[5:6], off offset:96
	global_load_dwordx2 v[83:84], v[5:6], off offset:112
	ds_read2_b64 v[12:15], v29 offset1:224
	ds_read2_b64 v[16:19], v28 offset1:224
	;; [unrolled: 1-line block ×3, first 2 shown]
	s_movk_i32 s0, 0x3c0
	s_waitcnt vmcnt(1) lgkmcnt(2)
	v_mul_f32_e32 v5, v13, v9
	v_fma_f32 v5, v12, v8, -v5
	v_mul_f32_e32 v6, v12, v9
	s_waitcnt lgkmcnt(1)
	v_mul_f32_e32 v12, v17, v11
	v_fma_f32 v24, v16, v10, -v12
	v_mul_f32_e32 v12, v15, v9
	v_fma_f32 v25, v14, v8, -v12
	v_mul_f32_e32 v16, v16, v11
	s_waitcnt vmcnt(0) lgkmcnt(0)
	v_mul_f32_e32 v12, v21, v84
	v_mul_f32_e32 v26, v14, v9
	v_fmac_f32_e32 v16, v17, v10
	v_fma_f32 v17, v20, v83, -v12
	v_mul_f32_e32 v12, v19, v11
	v_fmac_f32_e32 v6, v13, v8
	v_fmac_f32_e32 v26, v15, v8
	v_fma_f32 v27, v18, v10, -v12
	ds_read2_b64 v[12:15], v93 offset1:224
	v_mul_f32_e32 v18, v18, v11
	v_fmac_f32_e32 v18, v19, v10
	v_mul_f32_e32 v19, v20, v84
	v_mul_f32_e32 v20, v23, v84
	v_fmac_f32_e32 v19, v21, v83
	v_fma_f32 v20, v22, v83, -v20
	v_mul_f32_e32 v21, v22, v84
	s_waitcnt lgkmcnt(0)
	v_sub_f32_e32 v22, v12, v24
	v_sub_f32_e32 v24, v14, v27
	;; [unrolled: 1-line block ×3, first 2 shown]
	v_fma_f32 v33, v14, 2.0, -v24
	v_sub_f32_e32 v14, v6, v19
	v_fmac_f32_e32 v21, v23, v83
	v_sub_f32_e32 v23, v13, v16
	v_fma_f32 v34, v15, 2.0, -v27
	v_sub_f32_e32 v15, v5, v17
	v_fma_f32 v6, v6, 2.0, -v14
	;; [unrolled: 2-line block ×3, first 2 shown]
	v_fma_f32 v13, v13, 2.0, -v23
	v_fma_f32 v5, v5, 2.0, -v15
	;; [unrolled: 1-line block ×3, first 2 shown]
	v_sub_f32_e32 v22, v26, v21
	v_sub_f32_e32 v5, v12, v5
	;; [unrolled: 1-line block ×3, first 2 shown]
	v_add_f32_e32 v15, v23, v15
	v_fma_f32 v19, v26, 2.0, -v22
	v_and_or_b32 v26, v31, s0, v7
	v_fma_f32 v12, v12, 2.0, -v5
	v_fma_f32 v13, v13, 2.0, -v6
	v_fma_f32 v17, v23, 2.0, -v15
	v_lshlrev_b32_e32 v99, 3, v26
	s_movk_i32 s0, 0x7c0
	v_sub_f32_e32 v23, v25, v20
	s_barrier
	ds_write2_b64 v99, v[12:13], v[16:17] offset1:16
	ds_write2_b64 v99, v[5:6], v[14:15] offset0:32 offset1:48
	v_and_or_b32 v5, v32, s0, v7
	v_and_b32_e32 v7, 63, v94
	v_fma_f32 v18, v25, 2.0, -v23
	v_lshlrev_b32_e32 v100, 3, v5
	v_mad_u64_u32 v[5:6], s[0:1], v7, 24, s[14:15]
	v_sub_f32_e32 v18, v33, v18
	v_sub_f32_e32 v19, v34, v19
	v_fma_f32 v20, v33, 2.0, -v18
	v_sub_f32_e32 v22, v24, v22
	v_add_f32_e32 v23, v27, v23
	v_and_b32_e32 v33, 63, v4
	v_fma_f32 v21, v34, 2.0, -v19
	v_fma_f32 v24, v24, 2.0, -v22
	;; [unrolled: 1-line block ×3, first 2 shown]
	v_mad_u64_u32 v[12:13], s[0:1], v33, 24, s[14:15]
	ds_write2_b64 v100, v[20:21], v[24:25] offset1:16
	ds_write2_b64 v100, v[18:19], v[22:23] offset0:32 offset1:48
	s_waitcnt lgkmcnt(0)
	s_barrier
	global_load_dwordx4 v[24:27], v[5:6], off offset:480
	global_load_dwordx4 v[20:23], v[12:13], off offset:480
	global_load_dwordx2 v[87:88], v[5:6], off offset:496
	global_load_dwordx2 v[85:86], v[12:13], off offset:496
	ds_read2_b64 v[12:15], v29 offset1:224
	ds_read2_b64 v[16:19], v28 offset1:224
	s_movk_i32 s0, 0x300
	v_and_or_b32 v7, v31, s0, v7
	v_lshlrev_b32_e32 v101, 3, v7
	s_movk_i32 s0, 0x700
	s_waitcnt vmcnt(2) lgkmcnt(1)
	v_mul_f32_e32 v29, v14, v21
	v_mul_f32_e32 v5, v13, v25
	;; [unrolled: 1-line block ×3, first 2 shown]
	v_fma_f32 v5, v12, v24, -v5
	v_mul_f32_e32 v12, v15, v21
	v_fma_f32 v28, v14, v20, -v12
	s_waitcnt lgkmcnt(0)
	v_mul_f32_e32 v12, v17, v27
	v_fmac_f32_e32 v6, v13, v24
	v_fmac_f32_e32 v29, v15, v20
	v_fma_f32 v34, v16, v26, -v12
	ds_read2_b64 v[12:15], v30 offset1:224
	v_mul_f32_e32 v35, v16, v27
	v_mul_f32_e32 v16, v19, v23
	v_fma_f32 v30, v18, v22, -v16
	v_mul_f32_e32 v36, v18, v23
	s_waitcnt vmcnt(1) lgkmcnt(0)
	v_mul_f32_e32 v16, v13, v88
	v_fmac_f32_e32 v35, v17, v26
	v_fmac_f32_e32 v36, v19, v22
	v_fma_f32 v37, v12, v87, -v16
	ds_read2_b64 v[16:19], v93 offset1:224
	v_mul_f32_e32 v12, v12, v88
	v_fmac_f32_e32 v12, v13, v87
	s_waitcnt vmcnt(0)
	v_mul_f32_e32 v13, v15, v86
	v_mul_f32_e32 v39, v14, v86
	v_fma_f32 v38, v14, v85, -v13
	v_fmac_f32_e32 v39, v15, v85
	s_waitcnt lgkmcnt(0)
	v_sub_f32_e32 v34, v16, v34
	v_sub_f32_e32 v35, v17, v35
	;; [unrolled: 1-line block ×4, first 2 shown]
	v_fma_f32 v5, v5, 2.0, -v15
	v_fma_f32 v6, v6, 2.0, -v14
	;; [unrolled: 1-line block ×4, first 2 shown]
	v_sub_f32_e32 v5, v12, v5
	v_sub_f32_e32 v6, v13, v6
	;; [unrolled: 1-line block ×3, first 2 shown]
	v_add_f32_e32 v15, v35, v15
	v_fma_f32 v12, v12, 2.0, -v5
	v_fma_f32 v13, v13, 2.0, -v6
	;; [unrolled: 1-line block ×4, first 2 shown]
	s_barrier
	ds_write2st64_b64 v101, v[12:13], v[16:17] offset1:1
	ds_write2st64_b64 v101, v[5:6], v[14:15] offset0:2 offset1:3
	v_sub_f32_e32 v7, v18, v30
	v_sub_f32_e32 v15, v19, v36
	v_sub_f32_e32 v14, v28, v38
	v_sub_f32_e32 v16, v29, v39
	v_fma_f32 v12, v18, 2.0, -v7
	v_fma_f32 v13, v19, 2.0, -v15
	;; [unrolled: 1-line block ×4, first 2 shown]
	v_sub_f32_e32 v40, v7, v16
	v_sub_f32_e32 v5, v12, v5
	;; [unrolled: 1-line block ×3, first 2 shown]
	v_add_f32_e32 v41, v15, v14
	v_fma_f32 v14, v7, 2.0, -v40
	v_and_or_b32 v7, v32, s0, v33
	v_fma_f32 v12, v12, 2.0, -v5
	v_fma_f32 v13, v13, 2.0, -v6
	;; [unrolled: 1-line block ×3, first 2 shown]
	v_lshlrev_b32_e32 v102, 3, v7
	ds_write2st64_b64 v102, v[12:13], v[14:15] offset1:1
	ds_write2st64_b64 v102, v[5:6], v[40:41] offset0:2 offset1:3
	s_waitcnt lgkmcnt(0)
	s_barrier
	ds_read_b64 v[91:92], v93 offset:12288
	ds_read2st64_b64 v[44:47], v93 offset1:4
	ds_read2st64_b64 v[60:63], v93 offset0:8 offset1:12
	ds_read2st64_b64 v[56:59], v93 offset0:16 offset1:20
	v_cmp_gt_u16_e64 s[0:1], 32, v94
	s_and_saveexec_b64 s[4:5], s[0:1]
	s_cbranch_execz .LBB0_3
; %bb.2:
	v_add_u32_e32 v5, 0x100, v93
	ds_read2st64_b64 v[40:43], v5 offset0:3 offset1:7
	ds_read2st64_b64 v[48:51], v5 offset0:11 offset1:15
	;; [unrolled: 1-line block ×3, first 2 shown]
	ds_read_b64 v[89:90], v93 offset:14080
.LBB0_3:
	s_or_b64 exec, exec, s[4:5]
	v_mad_u64_u32 v[5:6], s[4:5], v94, 48, s[14:15]
	v_and_b32_e32 v4, 0xff, v4
	v_mad_u64_u32 v[103:104], s[4:5], v4, 48, s[14:15]
	global_load_dwordx4 v[36:39], v[5:6], off offset:2016
	global_load_dwordx4 v[32:35], v[5:6], off offset:2032
	global_load_dwordx4 v[28:31], v[5:6], off offset:2048
	s_nop 0
	global_load_dwordx4 v[4:7], v[103:104], off offset:2016
	global_load_dwordx4 v[16:19], v[103:104], off offset:2032
	;; [unrolled: 1-line block ×3, first 2 shown]
	s_mov_b32 s4, 0x3f5ff5aa
	s_mov_b32 s5, 0x3f3bfb3b
	;; [unrolled: 1-line block ×4, first 2 shown]
	s_waitcnt vmcnt(5) lgkmcnt(2)
	v_mul_f32_e32 v103, v47, v37
	v_mul_f32_e32 v104, v46, v37
	s_waitcnt lgkmcnt(1)
	v_mul_f32_e32 v105, v61, v39
	s_waitcnt vmcnt(4)
	v_mul_f32_e32 v108, v62, v33
	s_waitcnt lgkmcnt(0)
	v_mul_f32_e32 v110, v56, v35
	s_waitcnt vmcnt(3)
	v_mul_f32_e32 v111, v59, v29
	v_mul_f32_e32 v113, v92, v31
	;; [unrolled: 1-line block ×7, first 2 shown]
	v_fma_f32 v46, v46, v36, -v103
	v_fmac_f32_e32 v104, v47, v36
	v_fma_f32 v47, v60, v38, -v105
	v_fmac_f32_e32 v108, v63, v32
	v_fmac_f32_e32 v110, v57, v34
	v_fma_f32 v57, v58, v28, -v111
	v_fma_f32 v58, v91, v30, -v113
	s_waitcnt vmcnt(2)
	v_mul_f32_e32 v105, v48, v7
	s_waitcnt vmcnt(1)
	v_mul_f32_e32 v63, v53, v19
	;; [unrolled: 2-line block ×3, first 2 shown]
	v_fmac_f32_e32 v106, v61, v38
	v_fma_f32 v60, v62, v32, -v107
	v_fma_f32 v56, v56, v34, -v109
	v_fmac_f32_e32 v112, v59, v28
	v_fmac_f32_e32 v114, v92, v30
	v_mul_f32_e32 v59, v43, v5
	v_mul_f32_e32 v103, v42, v5
	;; [unrolled: 1-line block ×6, first 2 shown]
	v_fmac_f32_e32 v105, v49, v6
	v_fma_f32 v49, v52, v18, -v63
	v_fmac_f32_e32 v111, v55, v12
	v_add_f32_e32 v52, v46, v58
	v_add_f32_e32 v55, v47, v57
	v_mul_f32_e32 v107, v50, v17
	v_mul_f32_e32 v92, v90, v15
	v_fma_f32 v42, v42, v4, -v59
	v_fmac_f32_e32 v103, v43, v4
	v_fma_f32 v43, v48, v6, -v61
	v_fma_f32 v48, v50, v16, -v62
	v_fmac_f32_e32 v109, v53, v18
	v_add_f32_e32 v53, v104, v114
	v_sub_f32_e32 v46, v46, v58
	v_add_f32_e32 v58, v106, v112
	v_sub_f32_e32 v47, v47, v57
	v_sub_f32_e32 v57, v106, v112
	v_add_f32_e32 v59, v60, v56
	v_sub_f32_e32 v56, v56, v60
	v_sub_f32_e32 v60, v110, v108
	v_add_f32_e32 v62, v55, v52
	v_mul_f32_e32 v113, v89, v15
	v_fmac_f32_e32 v107, v51, v16
	v_fma_f32 v50, v54, v12, -v91
	v_fma_f32 v51, v89, v14, -v92
	v_sub_f32_e32 v54, v104, v114
	v_add_f32_e32 v61, v108, v110
	v_add_f32_e32 v63, v58, v53
	v_sub_f32_e32 v89, v55, v52
	v_sub_f32_e32 v52, v52, v59
	;; [unrolled: 1-line block ×3, first 2 shown]
	v_add_f32_e32 v92, v60, v57
	v_add_f32_e32 v59, v59, v62
	v_fmac_f32_e32 v113, v90, v14
	v_sub_f32_e32 v90, v58, v53
	v_sub_f32_e32 v53, v53, v61
	;; [unrolled: 1-line block ×3, first 2 shown]
	v_add_f32_e32 v55, v56, v47
	v_sub_f32_e32 v106, v60, v57
	v_sub_f32_e32 v60, v54, v60
	;; [unrolled: 1-line block ×3, first 2 shown]
	v_add_f32_e32 v61, v61, v63
	v_add_f32_e32 v62, v92, v54
	;; [unrolled: 1-line block ×3, first 2 shown]
	v_sub_f32_e32 v104, v56, v47
	v_sub_f32_e32 v56, v46, v56
	;; [unrolled: 1-line block ×3, first 2 shown]
	v_add_f32_e32 v46, v55, v46
	v_add_f32_e32 v55, v45, v61
	v_mov_b32_e32 v108, v54
	v_mul_f32_e32 v44, 0x3f4a47b2, v52
	v_mul_f32_e32 v45, 0x3f4a47b2, v53
	;; [unrolled: 1-line block ×7, first 2 shown]
	v_fmac_f32_e32 v108, 0xbf955555, v59
	v_mov_b32_e32 v59, v55
	v_mul_f32_e32 v106, 0x3f5ff5aa, v57
	v_fmac_f32_e32 v59, 0xbf955555, v61
	v_fma_f32 v52, v89, s5, -v52
	v_fma_f32 v53, v90, s5, -v53
	;; [unrolled: 1-line block ×3, first 2 shown]
	v_fmac_f32_e32 v44, 0x3d64c772, v91
	v_fma_f32 v89, v90, s6, -v45
	v_fma_f32 v47, v47, s4, -v92
	v_fma_f32 v90, v57, s4, -v104
	v_fmac_f32_e32 v104, 0x3eae86e6, v60
	v_fma_f32 v91, v56, s7, -v63
	v_fmac_f32_e32 v45, 0x3d64c772, v58
	v_fmac_f32_e32 v92, 0x3eae86e6, v56
	v_fma_f32 v106, v60, s7, -v106
	v_add_f32_e32 v44, v44, v108
	v_add_f32_e32 v52, v52, v108
	;; [unrolled: 1-line block ×4, first 2 shown]
	v_fmac_f32_e32 v104, 0x3ee1c552, v62
	v_fmac_f32_e32 v47, 0x3ee1c552, v46
	;; [unrolled: 1-line block ×4, first 2 shown]
	v_add_f32_e32 v45, v45, v59
	v_add_f32_e32 v108, v61, v108
	v_fmac_f32_e32 v92, 0x3ee1c552, v46
	v_fmac_f32_e32 v106, 0x3ee1c552, v62
	v_add_f32_e32 v56, v104, v44
	v_sub_f32_e32 v59, v110, v91
	v_sub_f32_e32 v60, v52, v90
	v_add_f32_e32 v61, v47, v53
	v_add_f32_e32 v62, v90, v52
	v_sub_f32_e32 v63, v53, v47
	v_add_f32_e32 v90, v91, v110
	v_sub_f32_e32 v91, v44, v104
	v_add_f32_e32 v44, v42, v51
	v_add_f32_e32 v47, v43, v50
	v_sub_f32_e32 v57, v45, v92
	v_add_f32_e32 v92, v92, v45
	v_add_f32_e32 v45, v103, v113
	v_sub_f32_e32 v42, v42, v51
	v_sub_f32_e32 v46, v103, v113
	v_add_f32_e32 v51, v105, v111
	v_add_f32_e32 v52, v48, v49
	;; [unrolled: 1-line block ×3, first 2 shown]
	v_sub_f32_e32 v43, v43, v50
	v_sub_f32_e32 v50, v105, v111
	v_add_f32_e32 v53, v107, v109
	v_add_f32_e32 v104, v51, v45
	v_sub_f32_e32 v105, v47, v44
	v_sub_f32_e32 v44, v44, v52
	;; [unrolled: 1-line block ×3, first 2 shown]
	v_add_f32_e32 v52, v52, v103
	v_add_f32_e32 v58, v106, v108
	v_sub_f32_e32 v89, v108, v106
	v_sub_f32_e32 v48, v49, v48
	;; [unrolled: 1-line block ×6, first 2 shown]
	v_add_f32_e32 v53, v53, v104
	v_add_f32_e32 v40, v40, v52
	;; [unrolled: 1-line block ×4, first 2 shown]
	v_sub_f32_e32 v109, v48, v43
	v_sub_f32_e32 v110, v49, v50
	;; [unrolled: 1-line block ×4, first 2 shown]
	v_add_f32_e32 v41, v41, v53
	v_mov_b32_e32 v111, v40
	v_sub_f32_e32 v48, v42, v48
	v_sub_f32_e32 v49, v46, v49
	v_add_f32_e32 v42, v107, v42
	v_add_f32_e32 v46, v108, v46
	v_mul_f32_e32 v44, 0x3f4a47b2, v44
	v_mul_f32_e32 v45, 0x3f4a47b2, v45
	v_mul_f32_e32 v103, 0x3d64c772, v47
	v_mul_f32_e32 v104, 0x3d64c772, v51
	v_mul_f32_e32 v107, 0xbf08b237, v109
	v_mul_f32_e32 v108, 0xbf08b237, v110
	v_mul_f32_e32 v109, 0x3f5ff5aa, v43
	v_mul_f32_e32 v110, 0x3f5ff5aa, v50
	v_fmac_f32_e32 v111, 0xbf955555, v52
	v_mov_b32_e32 v52, v41
	v_fmac_f32_e32 v52, 0xbf955555, v53
	v_fma_f32 v53, v105, s5, -v103
	v_fma_f32 v103, v106, s5, -v104
	v_fma_f32 v104, v105, s6, -v44
	v_fmac_f32_e32 v44, 0x3d64c772, v47
	v_fma_f32 v47, v106, s6, -v45
	v_fmac_f32_e32 v45, 0x3d64c772, v51
	v_fma_f32 v51, v43, s4, -v107
	;; [unrolled: 2-line block ×4, first 2 shown]
	v_fma_f32 v106, v49, s7, -v110
	v_add_f32_e32 v109, v44, v111
	v_add_f32_e32 v110, v45, v52
	;; [unrolled: 1-line block ×6, first 2 shown]
	v_fmac_f32_e32 v107, 0x3ee1c552, v42
	v_fmac_f32_e32 v108, 0x3ee1c552, v46
	v_fmac_f32_e32 v51, 0x3ee1c552, v42
	v_fmac_f32_e32 v50, 0x3ee1c552, v46
	v_fmac_f32_e32 v105, 0x3ee1c552, v42
	v_fmac_f32_e32 v106, 0x3ee1c552, v46
	v_add_f32_e32 v42, v108, v109
	v_sub_f32_e32 v43, v110, v107
	v_add_f32_e32 v44, v106, v53
	v_sub_f32_e32 v45, v52, v105
	v_sub_f32_e32 v46, v48, v50
	v_add_f32_e32 v47, v51, v49
	v_add_f32_e32 v48, v50, v48
	v_sub_f32_e32 v49, v49, v51
	v_sub_f32_e32 v50, v53, v106
	v_add_f32_e32 v51, v105, v52
	v_sub_f32_e32 v52, v109, v108
	v_add_f32_e32 v53, v107, v110
	ds_write2st64_b64 v93, v[54:55], v[56:57] offset1:4
	ds_write2st64_b64 v93, v[58:59], v[60:61] offset0:8 offset1:12
	ds_write2st64_b64 v93, v[62:63], v[89:90] offset0:16 offset1:20
	ds_write_b64 v93, v[91:92] offset:12288
	s_and_saveexec_b64 s[4:5], s[0:1]
	s_cbranch_execz .LBB0_5
; %bb.4:
	v_add_u32_e32 v54, 0x100, v93
	ds_write2st64_b64 v54, v[40:41], v[42:43] offset0:3 offset1:7
	ds_write2st64_b64 v54, v[44:45], v[46:47] offset0:11 offset1:15
	ds_write2st64_b64 v54, v[48:49], v[50:51] offset0:19 offset1:23
	ds_write_b64 v93, v[52:53] offset:14080
.LBB0_5:
	s_or_b64 exec, exec, s[4:5]
	v_lshlrev_b32_e32 v40, 3, v94
	v_mov_b32_e32 v41, s13
	v_add_co_u32_e32 v56, vcc, s12, v40
	v_addc_co_u32_e32 v57, vcc, 0, v41, vcc
	v_add_co_u32_e32 v40, vcc, 0x3800, v56
	v_addc_co_u32_e32 v41, vcc, 0, v57, vcc
	;; [unrolled: 2-line block ×3, first 2 shown]
	s_waitcnt lgkmcnt(0)
	s_barrier
	global_load_dwordx2 v[58:59], v[54:55], off offset:2048
	global_load_dwordx2 v[62:63], v[40:41], off offset:1792
	s_movk_i32 s4, 0x5000
	v_add_co_u32_e32 v54, vcc, s4, v56
	v_addc_co_u32_e32 v55, vcc, 0, v57, vcc
	s_movk_i32 s4, 0x6000
	global_load_dwordx2 v[103:104], v[54:55], off offset:1024
	global_load_dwordx2 v[105:106], v[40:41], off offset:3584
	v_add_co_u32_e32 v40, vcc, s4, v56
	v_addc_co_u32_e32 v41, vcc, 0, v57, vcc
	s_movk_i32 s4, 0x4000
	v_add_co_u32_e32 v56, vcc, s4, v56
	global_load_dwordx2 v[107:108], v[40:41], off offset:512
	v_addc_co_u32_e32 v57, vcc, 0, v57, vcc
	global_load_dwordx2 v[109:110], v[56:57], off offset:3328
	global_load_dwordx2 v[111:112], v[40:41], off offset:2304
	;; [unrolled: 1-line block ×3, first 2 shown]
	ds_read2_b64 v[54:57], v93 offset1:224
	v_add_u32_e32 v117, 0xe00, v93
	v_add_u32_e32 v118, 0x1c00, v93
	;; [unrolled: 1-line block ×6, first 2 shown]
	s_waitcnt vmcnt(7) lgkmcnt(0)
	v_mul_f32_e32 v40, v55, v59
	v_mul_f32_e32 v41, v54, v59
	v_fma_f32 v40, v54, v58, -v40
	v_fmac_f32_e32 v41, v55, v58
	s_waitcnt vmcnt(6)
	v_mul_f32_e32 v89, v57, v63
	v_mul_f32_e32 v116, v56, v63
	ds_write_b64 v93, v[40:41]
	ds_read2_b64 v[58:61], v117 offset1:224
	v_fma_f32 v115, v56, v62, -v89
	ds_read2_b64 v[89:92], v118 offset1:224
	v_fmac_f32_e32 v116, v57, v62
	ds_read2_b64 v[54:57], v119 offset1:224
	s_waitcnt vmcnt(4) lgkmcnt(2)
	v_mul_f32_e32 v40, v59, v106
	v_mul_f32_e32 v41, v58, v106
	s_waitcnt lgkmcnt(1)
	v_mul_f32_e32 v62, v90, v104
	v_mul_f32_e32 v63, v89, v104
	s_waitcnt vmcnt(3) lgkmcnt(0)
	v_mul_f32_e32 v123, v55, v108
	v_mul_f32_e32 v104, v54, v108
	s_waitcnt vmcnt(2)
	v_mul_f32_e32 v124, v61, v110
	v_mul_f32_e32 v106, v60, v110
	s_waitcnt vmcnt(0)
	v_mul_f32_e32 v125, v92, v114
	v_mul_f32_e32 v108, v91, v114
	;; [unrolled: 1-line block ×4, first 2 shown]
	v_fma_f32 v40, v58, v105, -v40
	v_fmac_f32_e32 v41, v59, v105
	v_fma_f32 v62, v89, v103, -v62
	v_fmac_f32_e32 v63, v90, v103
	;; [unrolled: 2-line block ×6, first 2 shown]
	ds_write2_b64 v120, v[115:116], v[40:41] offset1:224
	ds_write2_b64 v121, v[105:106], v[62:63] offset1:224
	;; [unrolled: 1-line block ×3, first 2 shown]
	ds_write_b64 v93, v[109:110] offset:12544
	s_waitcnt lgkmcnt(0)
	s_barrier
	ds_read2_b64 v[54:57], v93 offset1:224
	ds_read2_b64 v[58:61], v118 offset1:224
	;; [unrolled: 1-line block ×4, first 2 shown]
	s_waitcnt lgkmcnt(0)
	s_barrier
	v_sub_f32_e32 v40, v54, v58
	v_sub_f32_e32 v41, v55, v59
	;; [unrolled: 1-line block ×4, first 2 shown]
	v_fma_f32 v54, v54, 2.0, -v40
	v_fma_f32 v55, v55, 2.0, -v41
	;; [unrolled: 1-line block ×4, first 2 shown]
	v_add_f32_e32 v109, v40, v59
	v_sub_f32_e32 v110, v41, v58
	v_sub_f32_e32 v107, v54, v62
	;; [unrolled: 1-line block ×3, first 2 shown]
	v_fma_f32 v113, v40, 2.0, -v109
	v_fma_f32 v114, v41, 2.0, -v110
	v_sub_f32_e32 v40, v56, v60
	v_sub_f32_e32 v41, v57, v61
	;; [unrolled: 1-line block ×4, first 2 shown]
	v_fma_f32 v111, v54, 2.0, -v107
	v_fma_f32 v112, v55, 2.0, -v108
	;; [unrolled: 1-line block ×6, first 2 shown]
	v_sub_f32_e32 v54, v56, v54
	v_sub_f32_e32 v55, v57, v55
	v_fma_f32 v58, v56, 2.0, -v54
	v_fma_f32 v59, v57, 2.0, -v55
	v_add_f32_e32 v56, v40, v61
	v_sub_f32_e32 v57, v41, v60
	v_fma_f32 v60, v40, 2.0, -v56
	v_fma_f32 v61, v41, 2.0, -v57
	ds_write_b128 v95, v[111:114]
	ds_write_b128 v95, v[107:110] offset:16
	ds_write_b128 v96, v[58:61]
	ds_write_b128 v96, v[54:57] offset:16
	s_waitcnt lgkmcnt(0)
	s_barrier
	ds_read2_b64 v[54:57], v117 offset1:224
	ds_read2_b64 v[58:61], v93 offset1:224
	ds_read2_b64 v[89:92], v118 offset1:224
	ds_read2_b64 v[103:106], v119 offset1:224
	s_waitcnt lgkmcnt(0)
	v_mul_f32_e32 v40, v1, v55
	v_fmac_f32_e32 v40, v0, v54
	v_mul_f32_e32 v41, v1, v54
	v_mul_f32_e32 v54, v3, v90
	v_fma_f32 v41, v0, v55, -v41
	v_fmac_f32_e32 v54, v2, v89
	v_mul_f32_e32 v55, v3, v89
	v_mul_f32_e32 v89, v1, v57
	;; [unrolled: 1-line block ×3, first 2 shown]
	v_fma_f32 v55, v2, v90, -v55
	v_mul_f32_e32 v62, v82, v104
	v_mul_f32_e32 v63, v82, v103
	v_fmac_f32_e32 v89, v0, v56
	v_fma_f32 v56, v0, v57, -v1
	v_mul_f32_e32 v57, v3, v92
	v_mul_f32_e32 v0, v3, v91
	v_fmac_f32_e32 v62, v81, v103
	v_fma_f32 v63, v81, v104, -v63
	v_fmac_f32_e32 v57, v2, v91
	v_fma_f32 v90, v2, v92, -v0
	v_mul_f32_e32 v91, v82, v106
	v_mul_f32_e32 v0, v82, v105
	v_sub_f32_e32 v54, v58, v54
	v_sub_f32_e32 v55, v59, v55
	v_fmac_f32_e32 v91, v81, v105
	v_fma_f32 v81, v81, v106, -v0
	v_fma_f32 v2, v58, 2.0, -v54
	v_fma_f32 v3, v59, 2.0, -v55
	v_sub_f32_e32 v58, v40, v62
	v_sub_f32_e32 v59, v41, v63
	;; [unrolled: 1-line block ×4, first 2 shown]
	v_fma_f32 v0, v40, 2.0, -v58
	v_fma_f32 v1, v41, 2.0, -v59
	v_add_f32_e32 v40, v54, v59
	v_sub_f32_e32 v41, v55, v58
	v_fma_f32 v58, v60, 2.0, -v62
	v_fma_f32 v59, v61, 2.0, -v63
	v_sub_f32_e32 v61, v89, v91
	v_sub_f32_e32 v60, v56, v81
	v_fma_f32 v57, v89, 2.0, -v61
	v_fma_f32 v81, v56, 2.0, -v60
	v_sub_f32_e32 v0, v2, v0
	v_sub_f32_e32 v1, v3, v1
	;; [unrolled: 1-line block ×4, first 2 shown]
	v_fma_f32 v2, v2, 2.0, -v0
	v_fma_f32 v3, v3, 2.0, -v1
	;; [unrolled: 1-line block ×6, first 2 shown]
	v_add_f32_e32 v60, v62, v60
	v_sub_f32_e32 v61, v63, v61
	v_fma_f32 v62, v62, 2.0, -v60
	v_fma_f32 v63, v63, 2.0, -v61
	s_barrier
	ds_write2_b64 v97, v[2:3], v[54:55] offset1:4
	ds_write2_b64 v97, v[0:1], v[40:41] offset0:8 offset1:12
	ds_write2_b64 v98, v[58:59], v[62:63] offset1:4
	ds_write2_b64 v98, v[56:57], v[60:61] offset0:8 offset1:12
	s_waitcnt lgkmcnt(0)
	s_barrier
	ds_read2_b64 v[0:3], v117 offset1:224
	ds_read2_b64 v[54:57], v93 offset1:224
	;; [unrolled: 1-line block ×4, first 2 shown]
	s_waitcnt lgkmcnt(0)
	v_mul_f32_e32 v40, v9, v1
	v_fmac_f32_e32 v40, v8, v0
	v_mul_f32_e32 v0, v9, v0
	v_mul_f32_e32 v62, v9, v3
	v_fma_f32 v0, v8, v1, -v0
	v_mul_f32_e32 v1, v11, v59
	v_mul_f32_e32 v41, v11, v58
	v_fmac_f32_e32 v62, v8, v2
	v_mul_f32_e32 v2, v9, v2
	v_fmac_f32_e32 v1, v10, v58
	v_fma_f32 v41, v10, v59, -v41
	v_mul_f32_e32 v58, v84, v90
	v_mul_f32_e32 v59, v84, v89
	v_fma_f32 v63, v8, v3, -v2
	v_mul_f32_e32 v81, v11, v61
	v_mul_f32_e32 v2, v11, v60
	v_fmac_f32_e32 v58, v83, v89
	v_fma_f32 v59, v83, v90, -v59
	v_fmac_f32_e32 v81, v10, v60
	v_fma_f32 v60, v10, v61, -v2
	v_mul_f32_e32 v61, v84, v92
	v_mul_f32_e32 v2, v84, v91
	v_fmac_f32_e32 v61, v83, v91
	v_fma_f32 v82, v83, v92, -v2
	v_sub_f32_e32 v10, v54, v1
	v_sub_f32_e32 v11, v55, v41
	;; [unrolled: 1-line block ×6, first 2 shown]
	v_fma_f32 v2, v54, 2.0, -v10
	v_fma_f32 v3, v55, 2.0, -v11
	v_fma_f32 v1, v40, 2.0, -v9
	v_fma_f32 v40, v0, 2.0, -v8
	v_fma_f32 v54, v56, 2.0, -v58
	v_fma_f32 v55, v57, 2.0, -v59
	v_sub_f32_e32 v57, v62, v61
	v_sub_f32_e32 v56, v63, v82
	;; [unrolled: 1-line block ×4, first 2 shown]
	v_fma_f32 v40, v62, 2.0, -v57
	v_fma_f32 v41, v63, 2.0, -v56
	v_add_f32_e32 v8, v10, v8
	v_sub_f32_e32 v9, v11, v9
	v_sub_f32_e32 v40, v54, v40
	;; [unrolled: 1-line block ×3, first 2 shown]
	v_add_f32_e32 v56, v58, v56
	v_sub_f32_e32 v57, v59, v57
	v_fma_f32 v2, v2, 2.0, -v0
	v_fma_f32 v3, v3, 2.0, -v1
	v_fma_f32 v10, v10, 2.0, -v8
	v_fma_f32 v11, v11, 2.0, -v9
	v_fma_f32 v54, v54, 2.0, -v40
	v_fma_f32 v55, v55, 2.0, -v41
	v_fma_f32 v58, v58, 2.0, -v56
	v_fma_f32 v59, v59, 2.0, -v57
	s_barrier
	ds_write2_b64 v99, v[2:3], v[10:11] offset1:16
	ds_write2_b64 v99, v[0:1], v[8:9] offset0:32 offset1:48
	ds_write2_b64 v100, v[54:55], v[58:59] offset1:16
	ds_write2_b64 v100, v[40:41], v[56:57] offset0:32 offset1:48
	s_waitcnt lgkmcnt(0)
	s_barrier
	ds_read2_b64 v[0:3], v117 offset1:224
	ds_read2_b64 v[8:11], v93 offset1:224
	;; [unrolled: 1-line block ×4, first 2 shown]
	s_waitcnt lgkmcnt(0)
	v_mul_f32_e32 v40, v25, v1
	v_fmac_f32_e32 v40, v24, v0
	v_mul_f32_e32 v0, v25, v0
	v_fma_f32 v0, v24, v1, -v0
	v_mul_f32_e32 v1, v27, v55
	v_mul_f32_e32 v24, v27, v54
	;; [unrolled: 1-line block ×3, first 2 shown]
	v_fmac_f32_e32 v27, v20, v2
	v_mul_f32_e32 v2, v21, v2
	v_fmac_f32_e32 v1, v26, v54
	v_fma_f32 v24, v26, v55, -v24
	v_mul_f32_e32 v25, v88, v59
	v_mul_f32_e32 v26, v88, v58
	v_fma_f32 v41, v20, v3, -v2
	v_mul_f32_e32 v54, v23, v57
	v_mul_f32_e32 v2, v23, v56
	v_fmac_f32_e32 v25, v87, v58
	v_fma_f32 v26, v87, v59, -v26
	v_fmac_f32_e32 v54, v22, v56
	v_fma_f32 v22, v22, v57, -v2
	v_mul_f32_e32 v2, v86, v60
	v_sub_f32_e32 v20, v8, v1
	v_sub_f32_e32 v21, v9, v24
	v_mul_f32_e32 v23, v86, v61
	v_fma_f32 v55, v85, v61, -v2
	v_fma_f32 v2, v8, 2.0, -v20
	v_fma_f32 v3, v9, 2.0, -v21
	v_sub_f32_e32 v9, v40, v25
	v_sub_f32_e32 v8, v0, v26
	v_fmac_f32_e32 v23, v85, v60
	v_fma_f32 v1, v40, 2.0, -v9
	v_fma_f32 v24, v0, 2.0, -v8
	v_sub_f32_e32 v0, v2, v1
	v_sub_f32_e32 v1, v3, v24
	;; [unrolled: 1-line block ×6, first 2 shown]
	v_fma_f32 v22, v10, 2.0, -v24
	v_fma_f32 v26, v11, 2.0, -v25
	;; [unrolled: 1-line block ×4, first 2 shown]
	v_add_f32_e32 v8, v20, v8
	v_sub_f32_e32 v9, v21, v9
	v_sub_f32_e32 v10, v22, v10
	v_sub_f32_e32 v11, v26, v11
	v_add_f32_e32 v40, v24, v40
	v_sub_f32_e32 v41, v25, v54
	v_fma_f32 v2, v2, 2.0, -v0
	v_fma_f32 v3, v3, 2.0, -v1
	;; [unrolled: 1-line block ×8, first 2 shown]
	s_barrier
	ds_write2st64_b64 v101, v[2:3], v[20:21] offset1:1
	ds_write2st64_b64 v101, v[0:1], v[8:9] offset0:2 offset1:3
	ds_write2st64_b64 v102, v[22:23], v[24:25] offset1:1
	ds_write2st64_b64 v102, v[10:11], v[40:41] offset0:2 offset1:3
	s_waitcnt lgkmcnt(0)
	s_barrier
	ds_read2st64_b64 v[0:3], v93 offset1:4
	ds_read2st64_b64 v[20:23], v93 offset0:8 offset1:12
	ds_read2st64_b64 v[8:11], v93 offset0:16 offset1:20
	ds_read_b64 v[24:25], v93 offset:12288
	s_and_saveexec_b64 s[4:5], s[0:1]
	s_cbranch_execz .LBB0_7
; %bb.6:
	v_add_u32_e32 v26, 0x100, v93
	ds_read2st64_b64 v[40:43], v26 offset0:3 offset1:7
	ds_read2st64_b64 v[44:47], v26 offset0:11 offset1:15
	ds_read2st64_b64 v[48:51], v26 offset0:19 offset1:23
	ds_read_b64 v[52:53], v93 offset:14080
.LBB0_7:
	s_or_b64 exec, exec, s[4:5]
	s_waitcnt lgkmcnt(3)
	v_mul_f32_e32 v26, v37, v3
	v_fmac_f32_e32 v26, v36, v2
	v_mul_f32_e32 v2, v37, v2
	v_fma_f32 v2, v36, v3, -v2
	s_waitcnt lgkmcnt(2)
	v_mul_f32_e32 v3, v39, v21
	v_fmac_f32_e32 v3, v38, v20
	v_mul_f32_e32 v20, v39, v20
	v_fma_f32 v20, v38, v21, -v20
	v_mul_f32_e32 v21, v33, v23
	v_fmac_f32_e32 v21, v32, v22
	v_mul_f32_e32 v22, v33, v22
	v_fma_f32 v22, v32, v23, -v22
	s_waitcnt lgkmcnt(1)
	v_mul_f32_e32 v23, v35, v9
	v_fmac_f32_e32 v23, v34, v8
	v_mul_f32_e32 v8, v35, v8
	v_fma_f32 v8, v34, v9, -v8
	;; [unrolled: 9-line block ×3, first 2 shown]
	v_add_f32_e32 v25, v26, v11
	v_add_f32_e32 v27, v2, v24
	v_sub_f32_e32 v2, v2, v24
	v_add_f32_e32 v24, v3, v9
	v_sub_f32_e32 v11, v26, v11
	;; [unrolled: 2-line block ×3, first 2 shown]
	v_sub_f32_e32 v9, v20, v10
	v_add_f32_e32 v10, v21, v23
	v_add_f32_e32 v20, v22, v8
	v_sub_f32_e32 v8, v8, v22
	v_add_f32_e32 v22, v24, v25
	v_sub_f32_e32 v21, v23, v21
	;; [unrolled: 2-line block ×3, first 2 shown]
	v_sub_f32_e32 v25, v25, v10
	v_sub_f32_e32 v24, v10, v24
	v_add_f32_e32 v10, v10, v22
	v_sub_f32_e32 v29, v26, v27
	v_sub_f32_e32 v27, v27, v20
	;; [unrolled: 1-line block ×3, first 2 shown]
	v_add_f32_e32 v20, v20, v23
	v_add_f32_e32 v0, v0, v10
	;; [unrolled: 1-line block ×4, first 2 shown]
	v_sub_f32_e32 v32, v21, v3
	v_sub_f32_e32 v33, v8, v9
	v_add_f32_e32 v1, v1, v20
	v_mov_b32_e32 v34, v0
	v_sub_f32_e32 v21, v11, v21
	v_sub_f32_e32 v8, v2, v8
	;; [unrolled: 1-line block ×4, first 2 shown]
	v_add_f32_e32 v11, v30, v11
	v_add_f32_e32 v2, v31, v2
	v_mul_f32_e32 v22, 0x3f4a47b2, v25
	v_mul_f32_e32 v23, 0x3f4a47b2, v27
	;; [unrolled: 1-line block ×6, first 2 shown]
	s_mov_b32 s6, 0xbf5ff5aa
	v_fmac_f32_e32 v34, 0xbf955555, v10
	v_mov_b32_e32 v10, v1
	s_mov_b32 s7, 0x3f3bfb3b
	s_mov_b32 s12, 0xbf3bfb3b
	v_mul_f32_e32 v32, 0xbf5ff5aa, v3
	v_mul_f32_e32 v33, 0xbf5ff5aa, v9
	v_fmac_f32_e32 v10, 0xbf955555, v20
	v_fma_f32 v20, v28, s7, -v25
	v_fma_f32 v25, v29, s7, -v27
	;; [unrolled: 1-line block ×3, first 2 shown]
	v_fmac_f32_e32 v22, 0x3d64c772, v24
	v_fma_f32 v24, v29, s12, -v23
	v_fmac_f32_e32 v23, 0x3d64c772, v26
	v_fma_f32 v26, v3, s6, -v30
	v_fmac_f32_e32 v30, 0xbeae86e6, v21
	v_fma_f32 v28, v9, s6, -v31
	v_fmac_f32_e32 v31, 0xbeae86e6, v8
	s_mov_b32 s13, 0x3eae86e6
	v_fma_f32 v29, v21, s13, -v32
	v_fma_f32 v32, v8, s13, -v33
	v_add_f32_e32 v33, v22, v34
	v_add_f32_e32 v35, v23, v10
	v_fmac_f32_e32 v30, 0xbee1c552, v11
	v_fmac_f32_e32 v31, 0xbee1c552, v2
	v_add_f32_e32 v20, v20, v34
	v_add_f32_e32 v21, v25, v10
	;; [unrolled: 1-line block ×4, first 2 shown]
	v_fmac_f32_e32 v26, 0xbee1c552, v11
	v_fmac_f32_e32 v28, 0xbee1c552, v2
	;; [unrolled: 1-line block ×4, first 2 shown]
	v_add_f32_e32 v2, v31, v33
	v_sub_f32_e32 v3, v35, v30
	v_add_f32_e32 v8, v32, v22
	v_sub_f32_e32 v9, v23, v29
	v_sub_f32_e32 v10, v20, v28
	v_add_f32_e32 v11, v26, v21
	v_add_f32_e32 v20, v28, v20
	v_sub_f32_e32 v21, v21, v26
	v_sub_f32_e32 v22, v22, v32
	v_add_f32_e32 v23, v29, v23
	v_sub_f32_e32 v24, v33, v31
	v_add_f32_e32 v25, v30, v35
	ds_write2st64_b64 v93, v[0:1], v[2:3] offset1:4
	ds_write2st64_b64 v93, v[8:9], v[10:11] offset0:8 offset1:12
	ds_write2st64_b64 v93, v[20:21], v[22:23] offset0:16 offset1:20
	ds_write_b64 v93, v[24:25] offset:12288
	s_and_saveexec_b64 s[4:5], s[0:1]
	s_cbranch_execz .LBB0_9
; %bb.8:
	v_mul_f32_e32 v0, v5, v43
	v_mul_f32_e32 v2, v15, v53
	;; [unrolled: 1-line block ×6, first 2 shown]
	v_fmac_f32_e32 v0, v4, v42
	v_fmac_f32_e32 v2, v14, v52
	;; [unrolled: 1-line block ×6, first 2 shown]
	v_sub_f32_e32 v8, v0, v2
	v_sub_f32_e32 v1, v9, v10
	;; [unrolled: 1-line block ×5, first 2 shown]
	v_add_f32_e32 v1, v1, v22
	v_add_f32_e32 v25, v1, v8
	v_mul_f32_e32 v1, v15, v52
	v_fma_f32 v14, v14, v53, -v1
	v_mul_f32_e32 v1, v5, v42
	v_fma_f32 v4, v4, v43, -v1
	;; [unrolled: 2-line block ×4, first 2 shown]
	v_add_f32_e32 v26, v2, v0
	v_add_f32_e32 v0, v10, v9
	;; [unrolled: 1-line block ×4, first 2 shown]
	v_sub_f32_e32 v2, v26, v0
	v_mul_f32_e32 v23, 0x3f08b237, v3
	v_sub_f32_e32 v3, v5, v1
	v_mul_f32_e32 v9, 0x3f4a47b2, v2
	v_add_f32_e32 v10, v21, v20
	v_mul_f32_e32 v17, 0x3f4a47b2, v3
	v_mul_f32_e32 v3, v13, v50
	v_sub_f32_e32 v2, v0, v10
	v_mov_b32_e32 v21, v9
	v_fma_f32 v12, v12, v51, -v3
	v_mul_f32_e32 v3, v7, v44
	v_mul_f32_e32 v20, 0x3d64c772, v2
	v_fmac_f32_e32 v21, 0x3d64c772, v2
	v_add_f32_e32 v2, v10, v26
	v_fma_f32 v6, v6, v45, -v3
	v_add_f32_e32 v2, v0, v2
	v_add_f32_e32 v7, v12, v6
	;; [unrolled: 1-line block ×3, first 2 shown]
	v_sub_f32_e32 v3, v1, v7
	v_mov_b32_e32 v18, v17
	v_mov_b32_e32 v27, v0
	v_mul_f32_e32 v13, 0x3d64c772, v3
	v_fmac_f32_e32 v18, 0x3d64c772, v3
	v_add_f32_e32 v3, v7, v5
	v_fmac_f32_e32 v27, 0xbf955555, v2
	v_sub_f32_e32 v2, v16, v15
	v_sub_f32_e32 v6, v6, v12
	v_add_f32_e32 v3, v1, v3
	v_sub_f32_e32 v4, v4, v14
	v_sub_f32_e32 v12, v2, v6
	v_add_f32_e32 v1, v41, v3
	v_sub_f32_e32 v14, v4, v2
	v_mul_f32_e32 v12, 0x3f08b237, v12
	v_add_f32_e32 v2, v2, v6
	v_sub_f32_e32 v6, v6, v4
	v_mov_b32_e32 v24, v23
	v_mov_b32_e32 v19, v1
	;; [unrolled: 1-line block ×3, first 2 shown]
	v_add_f32_e32 v16, v2, v4
	v_sub_f32_e32 v8, v22, v8
	v_sub_f32_e32 v7, v7, v5
	;; [unrolled: 1-line block ×3, first 2 shown]
	v_mul_f32_e32 v4, 0xbf5ff5aa, v6
	v_fmac_f32_e32 v24, 0xbeae86e6, v11
	v_fmac_f32_e32 v19, 0xbf955555, v3
	v_fmac_f32_e32 v15, 0xbeae86e6, v14
	v_mul_f32_e32 v22, 0xbf5ff5aa, v8
	v_fma_f32 v5, v7, s12, -v17
	v_fma_f32 v9, v10, s12, -v9
	;; [unrolled: 1-line block ×7, first 2 shown]
	v_fmac_f32_e32 v24, 0xbee1c552, v25
	v_add_f32_e32 v18, v18, v19
	v_add_f32_e32 v21, v21, v27
	v_fmac_f32_e32 v15, 0xbee1c552, v16
	v_fma_f32 v11, v11, s13, -v22
	v_add_f32_e32 v22, v9, v27
	v_fmac_f32_e32 v14, 0xbee1c552, v16
	v_add_f32_e32 v9, v7, v19
	v_fmac_f32_e32 v8, 0xbee1c552, v25
	v_fmac_f32_e32 v12, 0xbee1c552, v16
	v_add_f32_e32 v10, v6, v27
	v_fmac_f32_e32 v11, 0xbee1c552, v25
	v_add_f32_e32 v17, v5, v19
	v_sub_f32_e32 v4, v22, v14
	v_sub_f32_e32 v7, v9, v8
	v_add_f32_e32 v6, v12, v10
	v_add_f32_e32 v9, v8, v9
	v_sub_f32_e32 v8, v10, v12
	v_add_f32_e32 v10, v14, v22
	v_sub_f32_e32 v13, v18, v24
	v_add_f32_e32 v12, v15, v21
	v_add_u32_e32 v14, 0x100, v93
	v_add_f32_e32 v3, v24, v18
	v_sub_f32_e32 v2, v21, v15
	v_add_f32_e32 v5, v11, v17
	v_sub_f32_e32 v11, v17, v11
	ds_write2st64_b64 v14, v[0:1], v[12:13] offset0:3 offset1:7
	ds_write2st64_b64 v14, v[10:11], v[8:9] offset0:11 offset1:15
	;; [unrolled: 1-line block ×3, first 2 shown]
	ds_write_b64 v93, v[2:3] offset:14080
.LBB0_9:
	s_or_b64 exec, exec, s[4:5]
	s_waitcnt lgkmcnt(0)
	s_barrier
	ds_read2_b64 v[0:3], v93 offset1:224
	v_mad_u64_u32 v[8:9], s[0:1], s10, v68, 0
	s_mov_b32 s0, 0x92492492
	s_mov_b32 s1, 0x3f424924
	s_waitcnt lgkmcnt(0)
	v_mul_f32_e32 v4, v78, v1
	v_fmac_f32_e32 v4, v77, v0
	v_cvt_f64_f32_e32 v[4:5], v4
	v_mul_f32_e32 v0, v78, v0
	v_fma_f32 v0, v77, v1, -v0
	v_cvt_f64_f32_e32 v[0:1], v0
	v_mul_f64 v[4:5], v[4:5], s[0:1]
	v_mad_u64_u32 v[10:11], s[4:5], s8, v94, 0
	v_mov_b32_e32 v6, v9
	v_mad_u64_u32 v[6:7], s[4:5], s11, v68, v[6:7]
	v_mul_f64 v[0:1], v[0:1], s[0:1]
	v_cvt_f32_f64_e32 v12, v[4:5]
	v_mov_b32_e32 v4, v11
	v_mad_u64_u32 v[14:15], s[4:5], s9, v94, v[4:5]
	v_add_u32_e32 v4, 0xe00, v93
	v_mov_b32_e32 v9, v6
	ds_read2_b64 v[4:7], v4 offset1:224
	v_cvt_f32_f64_e32 v13, v[0:1]
	v_lshlrev_b64 v[0:1], 3, v[8:9]
	v_mov_b32_e32 v11, v14
	v_mov_b32_e32 v14, s3
	s_waitcnt lgkmcnt(0)
	v_mul_f32_e32 v8, v80, v5
	v_fmac_f32_e32 v8, v79, v4
	v_mul_f32_e32 v4, v80, v4
	v_fma_f32 v4, v79, v5, -v4
	v_cvt_f64_f32_e32 v[8:9], v8
	v_cvt_f64_f32_e32 v[4:5], v4
	v_add_co_u32_e32 v15, vcc, s2, v0
	v_addc_co_u32_e32 v14, vcc, v14, v1, vcc
	v_mul_f64 v[0:1], v[8:9], s[0:1]
	v_mul_f64 v[4:5], v[4:5], s[0:1]
	v_lshlrev_b64 v[8:9], 3, v[10:11]
	s_mul_i32 s2, s9, 0xe00
	v_add_co_u32_e32 v16, vcc, v15, v8
	v_addc_co_u32_e32 v17, vcc, v14, v9, vcc
	v_cvt_f32_f64_e32 v0, v[0:1]
	v_cvt_f32_f64_e32 v1, v[4:5]
	v_add_u32_e32 v4, 0x1c00, v93
	ds_read2_b64 v[8:11], v4 offset1:224
	global_store_dwordx2 v[16:17], v[12:13], off
	s_mul_hi_u32 s3, s8, 0xe00
	v_add_u32_e32 v12, 0x2a00, v93
	s_add_i32 s4, s3, s2
	s_waitcnt lgkmcnt(0)
	v_mul_f32_e32 v4, v74, v9
	v_fmac_f32_e32 v4, v73, v8
	v_mul_f32_e32 v8, v74, v8
	v_fma_f32 v8, v73, v9, -v8
	v_cvt_f64_f32_e32 v[4:5], v4
	v_cvt_f64_f32_e32 v[8:9], v8
	s_mul_i32 s5, s8, 0xe00
	ds_read2_b64 v[12:15], v12 offset1:224
	v_mov_b32_e32 v18, s4
	v_add_co_u32_e32 v16, vcc, s5, v16
	v_addc_co_u32_e32 v17, vcc, v17, v18, vcc
	global_store_dwordx2 v[16:17], v[0:1], off
	v_mul_f64 v[0:1], v[4:5], s[0:1]
	v_mul_f64 v[4:5], v[8:9], s[0:1]
	s_waitcnt lgkmcnt(0)
	v_mul_f32_e32 v8, v76, v13
	v_fmac_f32_e32 v8, v75, v12
	v_cvt_f64_f32_e32 v[8:9], v8
	v_mul_f32_e32 v12, v76, v12
	v_fma_f32 v12, v75, v13, -v12
	v_cvt_f64_f32_e32 v[12:13], v12
	v_cvt_f32_f64_e32 v0, v[0:1]
	v_cvt_f32_f64_e32 v1, v[4:5]
	v_mul_f64 v[4:5], v[8:9], s[0:1]
	v_mul_f64 v[8:9], v[12:13], s[0:1]
	v_mov_b32_e32 v13, s4
	v_add_co_u32_e32 v12, vcc, s5, v16
	v_addc_co_u32_e32 v13, vcc, v17, v13, vcc
	global_store_dwordx2 v[12:13], v[0:1], off
	v_cvt_f32_f64_e32 v0, v[4:5]
	v_mul_f32_e32 v4, v72, v3
	v_fmac_f32_e32 v4, v71, v2
	v_cvt_f32_f64_e32 v1, v[8:9]
	v_cvt_f64_f32_e32 v[4:5], v4
	v_mul_f32_e32 v2, v72, v2
	v_fma_f32 v2, v71, v3, -v2
	v_mov_b32_e32 v9, s4
	v_cvt_f64_f32_e32 v[2:3], v2
	v_add_co_u32_e32 v8, vcc, s5, v12
	v_addc_co_u32_e32 v9, vcc, v13, v9, vcc
	global_store_dwordx2 v[8:9], v[0:1], off
	v_mul_f64 v[0:1], v[4:5], s[0:1]
	v_mul_f32_e32 v4, v70, v7
	v_fmac_f32_e32 v4, v69, v6
	v_mul_f64 v[2:3], v[2:3], s[0:1]
	v_cvt_f64_f32_e32 v[4:5], v4
	v_mul_f32_e32 v6, v70, v6
	v_fma_f32 v6, v69, v7, -v6
	v_cvt_f64_f32_e32 v[6:7], v6
	v_mul_f64 v[4:5], v[4:5], s[0:1]
	v_cvt_f32_f64_e32 v0, v[0:1]
	v_mov_b32_e32 v1, 0xffffdd00
	v_mul_f64 v[6:7], v[6:7], s[0:1]
	v_mad_u64_u32 v[8:9], s[2:3], s8, v1, v[8:9]
	v_cvt_f32_f64_e32 v1, v[2:3]
	s_mul_i32 s2, s9, 0xffffdd00
	s_sub_i32 s2, s2, s8
	v_add_u32_e32 v9, s2, v9
	global_store_dwordx2 v[8:9], v[0:1], off
	v_cvt_f32_f64_e32 v0, v[4:5]
	v_mul_f32_e32 v2, v67, v11
	v_mul_f32_e32 v4, v67, v10
	v_fmac_f32_e32 v2, v66, v10
	v_fma_f32 v4, v66, v11, -v4
	v_cvt_f32_f64_e32 v1, v[6:7]
	v_cvt_f64_f32_e32 v[2:3], v2
	v_cvt_f64_f32_e32 v[4:5], v4
	v_mov_b32_e32 v7, s4
	v_add_co_u32_e32 v6, vcc, s5, v8
	v_addc_co_u32_e32 v7, vcc, v9, v7, vcc
	global_store_dwordx2 v[6:7], v[0:1], off
	v_mul_f64 v[0:1], v[2:3], s[0:1]
	v_mul_f64 v[2:3], v[4:5], s[0:1]
	v_mul_f32_e32 v4, v65, v15
	v_mul_f32_e32 v8, v65, v14
	v_fmac_f32_e32 v4, v64, v14
	v_fma_f32 v8, v64, v15, -v8
	v_cvt_f64_f32_e32 v[4:5], v4
	v_cvt_f64_f32_e32 v[8:9], v8
	v_cvt_f32_f64_e32 v0, v[0:1]
	v_cvt_f32_f64_e32 v1, v[2:3]
	v_mul_f64 v[2:3], v[4:5], s[0:1]
	v_mul_f64 v[4:5], v[8:9], s[0:1]
	v_mov_b32_e32 v8, s4
	v_add_co_u32_e32 v6, vcc, s5, v6
	v_addc_co_u32_e32 v7, vcc, v7, v8, vcc
	global_store_dwordx2 v[6:7], v[0:1], off
	v_cvt_f32_f64_e32 v0, v[2:3]
	v_cvt_f32_f64_e32 v1, v[4:5]
	v_mov_b32_e32 v3, s4
	v_add_co_u32_e32 v2, vcc, s5, v6
	v_addc_co_u32_e32 v3, vcc, v7, v3, vcc
	global_store_dwordx2 v[2:3], v[0:1], off
.LBB0_10:
	s_endpgm
	.section	.rodata,"a",@progbits
	.p2align	6, 0x0
	.amdhsa_kernel bluestein_single_back_len1792_dim1_sp_op_CI_CI
		.amdhsa_group_segment_fixed_size 14336
		.amdhsa_private_segment_fixed_size 0
		.amdhsa_kernarg_size 104
		.amdhsa_user_sgpr_count 6
		.amdhsa_user_sgpr_private_segment_buffer 1
		.amdhsa_user_sgpr_dispatch_ptr 0
		.amdhsa_user_sgpr_queue_ptr 0
		.amdhsa_user_sgpr_kernarg_segment_ptr 1
		.amdhsa_user_sgpr_dispatch_id 0
		.amdhsa_user_sgpr_flat_scratch_init 0
		.amdhsa_user_sgpr_private_segment_size 0
		.amdhsa_uses_dynamic_stack 0
		.amdhsa_system_sgpr_private_segment_wavefront_offset 0
		.amdhsa_system_sgpr_workgroup_id_x 1
		.amdhsa_system_sgpr_workgroup_id_y 0
		.amdhsa_system_sgpr_workgroup_id_z 0
		.amdhsa_system_sgpr_workgroup_info 0
		.amdhsa_system_vgpr_workitem_id 0
		.amdhsa_next_free_vgpr 126
		.amdhsa_next_free_sgpr 20
		.amdhsa_reserve_vcc 1
		.amdhsa_reserve_flat_scratch 0
		.amdhsa_float_round_mode_32 0
		.amdhsa_float_round_mode_16_64 0
		.amdhsa_float_denorm_mode_32 3
		.amdhsa_float_denorm_mode_16_64 3
		.amdhsa_dx10_clamp 1
		.amdhsa_ieee_mode 1
		.amdhsa_fp16_overflow 0
		.amdhsa_exception_fp_ieee_invalid_op 0
		.amdhsa_exception_fp_denorm_src 0
		.amdhsa_exception_fp_ieee_div_zero 0
		.amdhsa_exception_fp_ieee_overflow 0
		.amdhsa_exception_fp_ieee_underflow 0
		.amdhsa_exception_fp_ieee_inexact 0
		.amdhsa_exception_int_div_zero 0
	.end_amdhsa_kernel
	.text
.Lfunc_end0:
	.size	bluestein_single_back_len1792_dim1_sp_op_CI_CI, .Lfunc_end0-bluestein_single_back_len1792_dim1_sp_op_CI_CI
                                        ; -- End function
	.section	.AMDGPU.csdata,"",@progbits
; Kernel info:
; codeLenInByte = 7976
; NumSgprs: 24
; NumVgprs: 126
; ScratchSize: 0
; MemoryBound: 0
; FloatMode: 240
; IeeeMode: 1
; LDSByteSize: 14336 bytes/workgroup (compile time only)
; SGPRBlocks: 2
; VGPRBlocks: 31
; NumSGPRsForWavesPerEU: 24
; NumVGPRsForWavesPerEU: 126
; Occupancy: 2
; WaveLimiterHint : 1
; COMPUTE_PGM_RSRC2:SCRATCH_EN: 0
; COMPUTE_PGM_RSRC2:USER_SGPR: 6
; COMPUTE_PGM_RSRC2:TRAP_HANDLER: 0
; COMPUTE_PGM_RSRC2:TGID_X_EN: 1
; COMPUTE_PGM_RSRC2:TGID_Y_EN: 0
; COMPUTE_PGM_RSRC2:TGID_Z_EN: 0
; COMPUTE_PGM_RSRC2:TIDIG_COMP_CNT: 0
	.type	__hip_cuid_6d236b4d6ef29461,@object ; @__hip_cuid_6d236b4d6ef29461
	.section	.bss,"aw",@nobits
	.globl	__hip_cuid_6d236b4d6ef29461
__hip_cuid_6d236b4d6ef29461:
	.byte	0                               ; 0x0
	.size	__hip_cuid_6d236b4d6ef29461, 1

	.ident	"AMD clang version 19.0.0git (https://github.com/RadeonOpenCompute/llvm-project roc-6.4.0 25133 c7fe45cf4b819c5991fe208aaa96edf142730f1d)"
	.section	".note.GNU-stack","",@progbits
	.addrsig
	.addrsig_sym __hip_cuid_6d236b4d6ef29461
	.amdgpu_metadata
---
amdhsa.kernels:
  - .args:
      - .actual_access:  read_only
        .address_space:  global
        .offset:         0
        .size:           8
        .value_kind:     global_buffer
      - .actual_access:  read_only
        .address_space:  global
        .offset:         8
        .size:           8
        .value_kind:     global_buffer
      - .actual_access:  read_only
        .address_space:  global
        .offset:         16
        .size:           8
        .value_kind:     global_buffer
      - .actual_access:  read_only
        .address_space:  global
        .offset:         24
        .size:           8
        .value_kind:     global_buffer
      - .actual_access:  read_only
        .address_space:  global
        .offset:         32
        .size:           8
        .value_kind:     global_buffer
      - .offset:         40
        .size:           8
        .value_kind:     by_value
      - .address_space:  global
        .offset:         48
        .size:           8
        .value_kind:     global_buffer
      - .address_space:  global
        .offset:         56
        .size:           8
        .value_kind:     global_buffer
      - .address_space:  global
        .offset:         64
        .size:           8
        .value_kind:     global_buffer
      - .address_space:  global
        .offset:         72
        .size:           8
        .value_kind:     global_buffer
      - .offset:         80
        .size:           4
        .value_kind:     by_value
      - .address_space:  global
        .offset:         88
        .size:           8
        .value_kind:     global_buffer
      - .address_space:  global
        .offset:         96
        .size:           8
        .value_kind:     global_buffer
    .group_segment_fixed_size: 14336
    .kernarg_segment_align: 8
    .kernarg_segment_size: 104
    .language:       OpenCL C
    .language_version:
      - 2
      - 0
    .max_flat_workgroup_size: 224
    .name:           bluestein_single_back_len1792_dim1_sp_op_CI_CI
    .private_segment_fixed_size: 0
    .sgpr_count:     24
    .sgpr_spill_count: 0
    .symbol:         bluestein_single_back_len1792_dim1_sp_op_CI_CI.kd
    .uniform_work_group_size: 1
    .uses_dynamic_stack: false
    .vgpr_count:     126
    .vgpr_spill_count: 0
    .wavefront_size: 64
amdhsa.target:   amdgcn-amd-amdhsa--gfx906
amdhsa.version:
  - 1
  - 2
...

	.end_amdgpu_metadata
